;; amdgpu-corpus repo=ROCm/rocFFT kind=compiled arch=gfx1030 opt=O3
	.text
	.amdgcn_target "amdgcn-amd-amdhsa--gfx1030"
	.amdhsa_code_object_version 6
	.protected	fft_rtc_back_len1456_factors_13_4_7_2_2_wgs_182_tpt_182_halfLds_dp_ip_CI_unitstride_sbrr_C2R_dirReg ; -- Begin function fft_rtc_back_len1456_factors_13_4_7_2_2_wgs_182_tpt_182_halfLds_dp_ip_CI_unitstride_sbrr_C2R_dirReg
	.globl	fft_rtc_back_len1456_factors_13_4_7_2_2_wgs_182_tpt_182_halfLds_dp_ip_CI_unitstride_sbrr_C2R_dirReg
	.p2align	8
	.type	fft_rtc_back_len1456_factors_13_4_7_2_2_wgs_182_tpt_182_halfLds_dp_ip_CI_unitstride_sbrr_C2R_dirReg,@function
fft_rtc_back_len1456_factors_13_4_7_2_2_wgs_182_tpt_182_halfLds_dp_ip_CI_unitstride_sbrr_C2R_dirReg: ; @fft_rtc_back_len1456_factors_13_4_7_2_2_wgs_182_tpt_182_halfLds_dp_ip_CI_unitstride_sbrr_C2R_dirReg
; %bb.0:
	s_clause 0x2
	s_load_dwordx4 s[8:11], s[4:5], 0x0
	s_load_dwordx2 s[2:3], s[4:5], 0x50
	s_load_dwordx2 s[12:13], s[4:5], 0x18
	v_mul_u32_u24_e32 v1, 0x169, v0
	v_mov_b32_e32 v3, 0
	v_add_nc_u32_sdwa v5, s6, v1 dst_sel:DWORD dst_unused:UNUSED_PAD src0_sel:DWORD src1_sel:WORD_1
	v_mov_b32_e32 v1, 0
	v_mov_b32_e32 v6, v3
	v_mov_b32_e32 v2, 0
	s_waitcnt lgkmcnt(0)
	v_cmp_lt_u64_e64 s0, s[10:11], 2
	s_and_b32 vcc_lo, exec_lo, s0
	s_cbranch_vccnz .LBB0_8
; %bb.1:
	s_load_dwordx2 s[0:1], s[4:5], 0x10
	v_mov_b32_e32 v1, 0
	s_add_u32 s6, s12, 8
	v_mov_b32_e32 v2, 0
	s_addc_u32 s7, s13, 0
	s_mov_b64 s[16:17], 1
	s_waitcnt lgkmcnt(0)
	s_add_u32 s14, s0, 8
	s_addc_u32 s15, s1, 0
.LBB0_2:                                ; =>This Inner Loop Header: Depth=1
	s_load_dwordx2 s[18:19], s[14:15], 0x0
                                        ; implicit-def: $vgpr7_vgpr8
	s_mov_b32 s0, exec_lo
	s_waitcnt lgkmcnt(0)
	v_or_b32_e32 v4, s19, v6
	v_cmpx_ne_u64_e32 0, v[3:4]
	s_xor_b32 s1, exec_lo, s0
	s_cbranch_execz .LBB0_4
; %bb.3:                                ;   in Loop: Header=BB0_2 Depth=1
	v_cvt_f32_u32_e32 v4, s18
	v_cvt_f32_u32_e32 v7, s19
	s_sub_u32 s0, 0, s18
	s_subb_u32 s20, 0, s19
	v_fmac_f32_e32 v4, 0x4f800000, v7
	v_rcp_f32_e32 v4, v4
	v_mul_f32_e32 v4, 0x5f7ffffc, v4
	v_mul_f32_e32 v7, 0x2f800000, v4
	v_trunc_f32_e32 v7, v7
	v_fmac_f32_e32 v4, 0xcf800000, v7
	v_cvt_u32_f32_e32 v7, v7
	v_cvt_u32_f32_e32 v4, v4
	v_mul_lo_u32 v8, s0, v7
	v_mul_hi_u32 v9, s0, v4
	v_mul_lo_u32 v10, s20, v4
	v_add_nc_u32_e32 v8, v9, v8
	v_mul_lo_u32 v9, s0, v4
	v_add_nc_u32_e32 v8, v8, v10
	v_mul_hi_u32 v10, v4, v9
	v_mul_lo_u32 v11, v4, v8
	v_mul_hi_u32 v12, v4, v8
	v_mul_hi_u32 v13, v7, v9
	v_mul_lo_u32 v9, v7, v9
	v_mul_hi_u32 v14, v7, v8
	v_mul_lo_u32 v8, v7, v8
	v_add_co_u32 v10, vcc_lo, v10, v11
	v_add_co_ci_u32_e32 v11, vcc_lo, 0, v12, vcc_lo
	v_add_co_u32 v9, vcc_lo, v10, v9
	v_add_co_ci_u32_e32 v9, vcc_lo, v11, v13, vcc_lo
	v_add_co_ci_u32_e32 v10, vcc_lo, 0, v14, vcc_lo
	v_add_co_u32 v8, vcc_lo, v9, v8
	v_add_co_ci_u32_e32 v9, vcc_lo, 0, v10, vcc_lo
	v_add_co_u32 v4, vcc_lo, v4, v8
	v_add_co_ci_u32_e32 v7, vcc_lo, v7, v9, vcc_lo
	v_mul_hi_u32 v8, s0, v4
	v_mul_lo_u32 v10, s20, v4
	v_mul_lo_u32 v9, s0, v7
	v_add_nc_u32_e32 v8, v8, v9
	v_mul_lo_u32 v9, s0, v4
	v_add_nc_u32_e32 v8, v8, v10
	v_mul_hi_u32 v10, v4, v9
	v_mul_lo_u32 v11, v4, v8
	v_mul_hi_u32 v12, v4, v8
	v_mul_hi_u32 v13, v7, v9
	v_mul_lo_u32 v9, v7, v9
	v_mul_hi_u32 v14, v7, v8
	v_mul_lo_u32 v8, v7, v8
	v_add_co_u32 v10, vcc_lo, v10, v11
	v_add_co_ci_u32_e32 v11, vcc_lo, 0, v12, vcc_lo
	v_add_co_u32 v9, vcc_lo, v10, v9
	v_add_co_ci_u32_e32 v9, vcc_lo, v11, v13, vcc_lo
	v_add_co_ci_u32_e32 v10, vcc_lo, 0, v14, vcc_lo
	v_add_co_u32 v8, vcc_lo, v9, v8
	v_add_co_ci_u32_e32 v9, vcc_lo, 0, v10, vcc_lo
	v_add_co_u32 v4, vcc_lo, v4, v8
	v_add_co_ci_u32_e32 v11, vcc_lo, v7, v9, vcc_lo
	v_mul_hi_u32 v13, v5, v4
	v_mad_u64_u32 v[9:10], null, v6, v4, 0
	v_mad_u64_u32 v[7:8], null, v5, v11, 0
	;; [unrolled: 1-line block ×3, first 2 shown]
	v_add_co_u32 v4, vcc_lo, v13, v7
	v_add_co_ci_u32_e32 v7, vcc_lo, 0, v8, vcc_lo
	v_add_co_u32 v4, vcc_lo, v4, v9
	v_add_co_ci_u32_e32 v4, vcc_lo, v7, v10, vcc_lo
	v_add_co_ci_u32_e32 v7, vcc_lo, 0, v12, vcc_lo
	v_add_co_u32 v4, vcc_lo, v4, v11
	v_add_co_ci_u32_e32 v9, vcc_lo, 0, v7, vcc_lo
	v_mul_lo_u32 v10, s19, v4
	v_mad_u64_u32 v[7:8], null, s18, v4, 0
	v_mul_lo_u32 v11, s18, v9
	v_sub_co_u32 v7, vcc_lo, v5, v7
	v_add3_u32 v8, v8, v11, v10
	v_sub_nc_u32_e32 v10, v6, v8
	v_subrev_co_ci_u32_e64 v10, s0, s19, v10, vcc_lo
	v_add_co_u32 v11, s0, v4, 2
	v_add_co_ci_u32_e64 v12, s0, 0, v9, s0
	v_sub_co_u32 v13, s0, v7, s18
	v_sub_co_ci_u32_e32 v8, vcc_lo, v6, v8, vcc_lo
	v_subrev_co_ci_u32_e64 v10, s0, 0, v10, s0
	v_cmp_le_u32_e32 vcc_lo, s18, v13
	v_cmp_eq_u32_e64 s0, s19, v8
	v_cndmask_b32_e64 v13, 0, -1, vcc_lo
	v_cmp_le_u32_e32 vcc_lo, s19, v10
	v_cndmask_b32_e64 v14, 0, -1, vcc_lo
	v_cmp_le_u32_e32 vcc_lo, s18, v7
	;; [unrolled: 2-line block ×3, first 2 shown]
	v_cndmask_b32_e64 v15, 0, -1, vcc_lo
	v_cmp_eq_u32_e32 vcc_lo, s19, v10
	v_cndmask_b32_e64 v7, v15, v7, s0
	v_cndmask_b32_e32 v10, v14, v13, vcc_lo
	v_add_co_u32 v13, vcc_lo, v4, 1
	v_add_co_ci_u32_e32 v14, vcc_lo, 0, v9, vcc_lo
	v_cmp_ne_u32_e32 vcc_lo, 0, v10
	v_cndmask_b32_e32 v8, v14, v12, vcc_lo
	v_cndmask_b32_e32 v10, v13, v11, vcc_lo
	v_cmp_ne_u32_e32 vcc_lo, 0, v7
	v_cndmask_b32_e32 v8, v9, v8, vcc_lo
	v_cndmask_b32_e32 v7, v4, v10, vcc_lo
.LBB0_4:                                ;   in Loop: Header=BB0_2 Depth=1
	s_andn2_saveexec_b32 s0, s1
	s_cbranch_execz .LBB0_6
; %bb.5:                                ;   in Loop: Header=BB0_2 Depth=1
	v_cvt_f32_u32_e32 v4, s18
	s_sub_i32 s1, 0, s18
	v_rcp_iflag_f32_e32 v4, v4
	v_mul_f32_e32 v4, 0x4f7ffffe, v4
	v_cvt_u32_f32_e32 v4, v4
	v_mul_lo_u32 v7, s1, v4
	v_mul_hi_u32 v7, v4, v7
	v_add_nc_u32_e32 v4, v4, v7
	v_mul_hi_u32 v4, v5, v4
	v_mul_lo_u32 v7, v4, s18
	v_add_nc_u32_e32 v8, 1, v4
	v_sub_nc_u32_e32 v7, v5, v7
	v_subrev_nc_u32_e32 v9, s18, v7
	v_cmp_le_u32_e32 vcc_lo, s18, v7
	v_cndmask_b32_e32 v7, v7, v9, vcc_lo
	v_cndmask_b32_e32 v4, v4, v8, vcc_lo
	v_cmp_le_u32_e32 vcc_lo, s18, v7
	v_add_nc_u32_e32 v8, 1, v4
	v_cndmask_b32_e32 v7, v4, v8, vcc_lo
	v_mov_b32_e32 v8, v3
.LBB0_6:                                ;   in Loop: Header=BB0_2 Depth=1
	s_or_b32 exec_lo, exec_lo, s0
	s_load_dwordx2 s[0:1], s[6:7], 0x0
	v_mul_lo_u32 v4, v8, s18
	v_mul_lo_u32 v11, v7, s19
	v_mad_u64_u32 v[9:10], null, v7, s18, 0
	s_add_u32 s16, s16, 1
	s_addc_u32 s17, s17, 0
	s_add_u32 s6, s6, 8
	s_addc_u32 s7, s7, 0
	;; [unrolled: 2-line block ×3, first 2 shown]
	v_add3_u32 v4, v10, v11, v4
	v_sub_co_u32 v5, vcc_lo, v5, v9
	v_sub_co_ci_u32_e32 v4, vcc_lo, v6, v4, vcc_lo
	s_waitcnt lgkmcnt(0)
	v_mul_lo_u32 v6, s1, v5
	v_mul_lo_u32 v4, s0, v4
	v_mad_u64_u32 v[1:2], null, s0, v5, v[1:2]
	v_cmp_ge_u64_e64 s0, s[16:17], s[10:11]
	s_and_b32 vcc_lo, exec_lo, s0
	v_add3_u32 v2, v6, v2, v4
	s_cbranch_vccnz .LBB0_9
; %bb.7:                                ;   in Loop: Header=BB0_2 Depth=1
	v_mov_b32_e32 v5, v7
	v_mov_b32_e32 v6, v8
	s_branch .LBB0_2
.LBB0_8:
	v_mov_b32_e32 v8, v6
	v_mov_b32_e32 v7, v5
.LBB0_9:
	s_lshl_b64 s[0:1], s[10:11], 3
	v_mul_hi_u32 v3, 0x1681682, v0
	s_add_u32 s0, s12, s0
	s_addc_u32 s1, s13, s1
	s_load_dwordx2 s[0:1], s[0:1], 0x0
	s_load_dwordx2 s[4:5], s[4:5], 0x20
	v_mul_u32_u24_e32 v3, 0xb6, v3
	s_waitcnt lgkmcnt(0)
	v_mul_lo_u32 v4, s0, v8
	v_mul_lo_u32 v5, s1, v7
	v_mad_u64_u32 v[1:2], null, s0, v7, v[1:2]
	v_cmp_gt_u64_e32 vcc_lo, s[4:5], v[7:8]
	v_add3_u32 v2, v5, v2, v4
	v_sub_nc_u32_e32 v4, v0, v3
	v_mov_b32_e32 v5, 0
	v_lshlrev_b64 v[74:75], 4, v[1:2]
	v_mov_b32_e32 v72, v4
	s_and_saveexec_b32 s1, vcc_lo
	s_cbranch_execz .LBB0_13
; %bb.10:
	v_lshlrev_b64 v[0:1], 4, v[4:5]
	v_add_co_u32 v2, s0, s2, v74
	v_add_co_ci_u32_e64 v3, s0, s3, v75, s0
	v_lshl_add_u32 v38, v4, 4, 0
	v_add_co_u32 v0, s0, v2, v0
	v_add_co_ci_u32_e64 v1, s0, v3, v1, s0
	s_mov_b32 s4, exec_lo
	v_add_co_u32 v10, s0, 0x800, v0
	v_add_co_ci_u32_e64 v11, s0, 0, v1, s0
	v_add_co_u32 v14, s0, 0x1000, v0
	v_add_co_ci_u32_e64 v15, s0, 0, v1, s0
	v_add_co_u32 v18, s0, 0x2000, v0
	v_add_co_ci_u32_e64 v19, s0, 0, v1, s0
	v_add_co_u32 v22, s0, 0x2800, v0
	v_add_co_ci_u32_e64 v23, s0, 0, v1, s0
	v_add_co_u32 v26, s0, 0x3800, v0
	v_add_co_ci_u32_e64 v27, s0, 0, v1, s0
	v_add_co_u32 v30, s0, 0x4000, v0
	v_add_co_ci_u32_e64 v31, s0, 0, v1, s0
	s_clause 0x1
	global_load_dwordx4 v[6:9], v[0:1], off
	global_load_dwordx4 v[10:13], v[10:11], off offset:864
	v_add_co_u32 v0, s0, 0x4800, v0
	v_add_co_ci_u32_e64 v1, s0, 0, v1, s0
	s_clause 0x5
	global_load_dwordx4 v[14:17], v[14:15], off offset:1728
	global_load_dwordx4 v[18:21], v[18:19], off offset:544
	;; [unrolled: 1-line block ×6, first 2 shown]
	v_mov_b32_e32 v0, v4
	v_mov_b32_e32 v1, v5
	s_waitcnt vmcnt(7)
	ds_write_b128 v38, v[6:9]
	s_waitcnt vmcnt(6)
	ds_write_b128 v38, v[10:13] offset:2912
	s_waitcnt vmcnt(5)
	ds_write_b128 v38, v[14:17] offset:5824
	;; [unrolled: 2-line block ×7, first 2 shown]
	v_cmpx_eq_u32_e32 0xb5, v4
	s_cbranch_execz .LBB0_12
; %bb.11:
	v_add_co_u32 v0, s0, 0x5800, v2
	v_add_co_ci_u32_e64 v1, s0, 0, v3, s0
	v_mov_b32_e32 v2, 0
	v_mov_b32_e32 v4, 0xb5
	global_load_dwordx4 v[5:8], v[0:1], off offset:768
	v_mov_b32_e32 v0, 0xb5
	v_mov_b32_e32 v1, 0
	s_waitcnt vmcnt(0)
	ds_write_b128 v2, v[5:8] offset:23296
.LBB0_12:
	s_or_b32 exec_lo, exec_lo, s4
	v_mov_b32_e32 v72, v4
	v_mov_b32_e32 v5, v1
	;; [unrolled: 1-line block ×3, first 2 shown]
.LBB0_13:
	s_or_b32 exec_lo, exec_lo, s1
	v_lshlrev_b32_e32 v0, 4, v72
	s_waitcnt lgkmcnt(0)
	s_barrier
	buffer_gl0_inv
	v_lshlrev_b64 v[80:81], 4, v[4:5]
	v_add_nc_u32_e32 v73, 0, v0
	v_sub_nc_u32_e32 v10, 0, v0
	s_add_u32 s1, s8, 0x5a30
	s_addc_u32 s4, s9, 0
	s_mov_b32 s5, exec_lo
	ds_read_b64 v[6:7], v73
	ds_read_b64 v[8:9], v10 offset:23296
	s_waitcnt lgkmcnt(0)
	v_add_f64 v[0:1], v[6:7], v[8:9]
	v_add_f64 v[2:3], v[6:7], -v[8:9]
	v_cmpx_ne_u32_e32 0, v72
	s_xor_b32 s5, exec_lo, s5
	s_cbranch_execz .LBB0_15
; %bb.14:
	v_add_co_u32 v0, s0, s1, v80
	v_add_co_ci_u32_e64 v1, s0, s4, v81, s0
	v_add_f64 v[13:14], v[6:7], v[8:9]
	v_add_f64 v[8:9], v[6:7], -v[8:9]
	global_load_dwordx4 v[2:5], v[0:1], off
	ds_read_b64 v[0:1], v10 offset:23304
	ds_read_b64 v[11:12], v73 offset:8
	s_waitcnt lgkmcnt(0)
	v_add_f64 v[6:7], v[0:1], v[11:12]
	v_add_f64 v[0:1], v[11:12], -v[0:1]
	s_waitcnt vmcnt(0)
	v_fma_f64 v[11:12], v[8:9], v[4:5], v[13:14]
	v_fma_f64 v[13:14], -v[8:9], v[4:5], v[13:14]
	v_fma_f64 v[15:16], v[6:7], v[4:5], -v[0:1]
	v_fma_f64 v[17:18], v[6:7], v[4:5], v[0:1]
	v_fma_f64 v[0:1], -v[6:7], v[2:3], v[11:12]
	v_fma_f64 v[4:5], v[6:7], v[2:3], v[13:14]
	v_fma_f64 v[6:7], v[8:9], v[2:3], v[15:16]
	;; [unrolled: 1-line block ×3, first 2 shown]
	ds_write_b128 v10, v[4:7] offset:23296
.LBB0_15:
	s_andn2_saveexec_b32 s0, s5
	s_cbranch_execz .LBB0_17
; %bb.16:
	v_mov_b32_e32 v8, 0
	ds_read_b128 v[4:7], v8 offset:11648
	s_waitcnt lgkmcnt(0)
	v_add_f64 v[4:5], v[4:5], v[4:5]
	v_mul_f64 v[6:7], v[6:7], -2.0
	ds_write_b128 v8, v[4:7] offset:11648
.LBB0_17:
	s_or_b32 exec_lo, exec_lo, s0
	v_add_nc_u32_e32 v84, 0xb6, v72
	v_mov_b32_e32 v85, 0
	v_add_nc_u32_e32 v8, 0x16c, v72
	ds_write_b128 v73, v[0:3]
	s_mov_b32 s20, 0x4267c47c
	s_mov_b32 s21, 0xbfddbe06
	v_lshlrev_b64 v[82:83], 4, v[84:85]
	v_mov_b32_e32 v9, v85
	s_mov_b32 s16, 0x42a4c3d2
	s_mov_b32 s6, 0x1ea71119
	;; [unrolled: 1-line block ×4, first 2 shown]
	v_add_co_u32 v4, s0, s1, v82
	v_add_co_ci_u32_e64 v5, s0, s4, v83, s0
	v_lshlrev_b64 v[76:77], 4, v[8:9]
	s_mov_b32 s18, 0x66966769
	s_mov_b32 s19, 0xbfefc445
	global_load_dwordx4 v[4:7], v[4:5], off
	s_mov_b32 s10, 0xebaa3ed8
	s_mov_b32 s11, 0x3fbedb7d
	v_add_co_u32 v8, s0, s1, v76
	v_add_co_ci_u32_e64 v9, s0, s4, v77, s0
	s_mov_b32 s14, 0x2ef20147
	s_mov_b32 s15, 0xbfedeba7
	;; [unrolled: 1-line block ×3, first 2 shown]
	global_load_dwordx4 v[11:14], v[8:9], off
	v_add_nc_u32_e32 v8, 0x222, v72
	v_mov_b32_e32 v9, v85
	s_mov_b32 s13, 0xbfd6b1d8
	s_mov_b32 s24, 0x24c2f84
	;; [unrolled: 1-line block ×4, first 2 shown]
	v_lshlrev_b64 v[78:79], 4, v[8:9]
	s_mov_b32 s23, 0xbfe7f3cc
	s_mov_b32 s34, 0x4bc48dbf
	;; [unrolled: 1-line block ×5, first 2 shown]
	v_add_co_u32 v8, s0, s1, v78
	v_add_co_ci_u32_e64 v9, s0, s4, v79, s0
	s_mov_b32 s4, 0xe00740e9
	s_mov_b32 s5, 0x3fec55a7
	;; [unrolled: 1-line block ×3, first 2 shown]
	global_load_dwordx4 v[15:18], v[8:9], off
	ds_read_b128 v[0:3], v73 offset:2912
	ds_read_b128 v[19:22], v10 offset:20384
	s_mov_b32 s36, s24
	s_mov_b32 s29, 0x3fefc445
	;; [unrolled: 1-line block ×11, first 2 shown]
	s_mov_b32 s1, exec_lo
	s_waitcnt lgkmcnt(0)
	v_add_f64 v[8:9], v[0:1], v[19:20]
	v_add_f64 v[23:24], v[21:22], v[2:3]
	v_add_f64 v[19:20], v[0:1], -v[19:20]
	v_add_f64 v[0:1], v[2:3], -v[21:22]
	s_waitcnt vmcnt(2)
	v_fma_f64 v[2:3], v[19:20], v[6:7], v[8:9]
	v_fma_f64 v[21:22], v[23:24], v[6:7], v[0:1]
	v_fma_f64 v[8:9], -v[19:20], v[6:7], v[8:9]
	v_fma_f64 v[25:26], v[23:24], v[6:7], -v[0:1]
	v_fma_f64 v[0:1], -v[23:24], v[4:5], v[2:3]
	v_fma_f64 v[2:3], v[19:20], v[4:5], v[21:22]
	v_fma_f64 v[6:7], v[23:24], v[4:5], v[8:9]
	;; [unrolled: 1-line block ×3, first 2 shown]
	ds_write_b128 v73, v[0:3] offset:2912
	ds_write_b128 v10, v[6:9] offset:20384
	ds_read_b128 v[0:3], v73 offset:5824
	ds_read_b128 v[4:7], v10 offset:17472
	s_waitcnt lgkmcnt(0)
	v_add_f64 v[8:9], v[0:1], v[4:5]
	v_add_f64 v[19:20], v[6:7], v[2:3]
	v_add_f64 v[21:22], v[0:1], -v[4:5]
	v_add_f64 v[0:1], v[2:3], -v[6:7]
	s_waitcnt vmcnt(1)
	v_fma_f64 v[2:3], v[21:22], v[13:14], v[8:9]
	v_fma_f64 v[4:5], v[19:20], v[13:14], v[0:1]
	v_fma_f64 v[6:7], -v[21:22], v[13:14], v[8:9]
	v_fma_f64 v[8:9], v[19:20], v[13:14], -v[0:1]
	v_fma_f64 v[0:1], -v[19:20], v[11:12], v[2:3]
	v_fma_f64 v[2:3], v[21:22], v[11:12], v[4:5]
	v_fma_f64 v[4:5], v[19:20], v[11:12], v[6:7]
	;; [unrolled: 1-line block ×3, first 2 shown]
	ds_write_b128 v73, v[0:3] offset:5824
	ds_write_b128 v10, v[4:7] offset:17472
	ds_read_b128 v[0:3], v73 offset:8736
	ds_read_b128 v[4:7], v10 offset:14560
	s_waitcnt lgkmcnt(0)
	v_add_f64 v[8:9], v[0:1], v[4:5]
	v_add_f64 v[11:12], v[6:7], v[2:3]
	v_add_f64 v[13:14], v[0:1], -v[4:5]
	v_add_f64 v[0:1], v[2:3], -v[6:7]
	s_waitcnt vmcnt(0)
	v_fma_f64 v[2:3], v[13:14], v[17:18], v[8:9]
	v_fma_f64 v[4:5], v[11:12], v[17:18], v[0:1]
	v_fma_f64 v[6:7], -v[13:14], v[17:18], v[8:9]
	v_fma_f64 v[8:9], v[11:12], v[17:18], -v[0:1]
	v_fma_f64 v[0:1], -v[11:12], v[15:16], v[2:3]
	v_fma_f64 v[2:3], v[13:14], v[15:16], v[4:5]
	v_fma_f64 v[4:5], v[11:12], v[15:16], v[6:7]
	;; [unrolled: 1-line block ×3, first 2 shown]
	ds_write_b128 v73, v[0:3] offset:8736
	ds_write_b128 v10, v[4:7] offset:14560
	s_waitcnt lgkmcnt(0)
	s_barrier
	buffer_gl0_inv
	s_barrier
	buffer_gl0_inv
	ds_read_b128 v[20:23], v73 offset:21504
	ds_read_b128 v[36:39], v73 offset:1792
	;; [unrolled: 1-line block ×3, first 2 shown]
	ds_read_b128 v[28:31], v73
	ds_read_b128 v[48:51], v73 offset:3584
	ds_read_b128 v[52:55], v73 offset:5376
	;; [unrolled: 1-line block ×9, first 2 shown]
	s_waitcnt lgkmcnt(0)
	s_barrier
	buffer_gl0_inv
	v_add_f64 v[113:114], v[38:39], -v[22:23]
	v_add_f64 v[135:136], v[38:39], v[22:23]
	v_add_f64 v[127:128], v[36:37], v[20:21]
	v_add_f64 v[85:86], v[50:51], -v[26:27]
	v_add_f64 v[131:132], v[36:37], -v[20:21]
	v_add_f64 v[91:92], v[50:51], v[26:27]
	v_add_f64 v[87:88], v[48:49], v[24:25]
	v_add_f64 v[89:90], v[48:49], -v[24:25]
	;; [unrolled: 4-line block ×5, first 2 shown]
	v_add_f64 v[117:118], v[70:71], -v[62:63]
	v_add_f64 v[111:112], v[68:69], v[60:61]
	v_mul_f64 v[129:130], v[113:114], s[20:21]
	v_mul_f64 v[133:134], v[135:136], s[4:5]
	v_add_f64 v[143:144], v[70:71], v[62:63]
	v_mul_f64 v[119:120], v[85:86], s[16:17]
	v_add_f64 v[121:122], v[68:69], -v[60:61]
	v_mul_f64 v[125:126], v[91:92], s[6:7]
	v_mul_f64 v[237:238], v[113:114], s[16:17]
	;; [unrolled: 1-line block ×17, first 2 shown]
	v_fma_f64 v[0:1], v[127:128], s[4:5], -v[129:130]
	v_fma_f64 v[4:5], v[131:132], s[20:21], v[133:134]
	v_mul_f64 v[169:170], v[143:144], s[26:27]
	v_fma_f64 v[2:3], v[87:88], s[6:7], -v[119:120]
	v_mul_f64 v[187:188], v[137:138], s[10:11]
	v_fma_f64 v[6:7], v[89:90], s[16:17], v[125:126]
	v_mul_f64 v[181:182], v[117:118], s[30:31]
	v_mul_f64 v[189:190], v[143:144], s[4:5]
	;; [unrolled: 1-line block ×5, first 2 shown]
	v_fma_f64 v[8:9], v[89:90], s[14:15], v[171:172]
	v_mul_f64 v[197:198], v[91:92], s[26:27]
	v_mul_f64 v[193:194], v[95:96], s[42:43]
	;; [unrolled: 1-line block ×10, first 2 shown]
	v_add_f64 v[0:1], v[28:29], v[0:1]
	v_add_f64 v[4:5], v[30:31], v[4:5]
	v_mul_f64 v[191:192], v[85:86], s[36:37]
	v_mul_f64 v[247:248], v[135:136], s[12:13]
	;; [unrolled: 1-line block ×7, first 2 shown]
	v_fma_f64 v[10:11], v[87:88], s[26:27], -v[183:184]
	v_mul_f64 v[225:226], v[107:108], s[40:41]
	v_mul_f64 v[233:234], v[137:138], s[26:27]
	v_fma_f64 v[12:13], v[89:90], s[34:35], v[197:198]
	v_mul_f64 v[227:228], v[117:118], s[38:39]
	v_mul_f64 v[235:236], v[143:144], s[6:7]
	v_mul_f64 v[249:250], v[113:114], s[24:25]
	v_mul_f64 v[173:174], v[85:86], s[28:29]
	v_mul_f64 v[251:252], v[135:136], s[22:23]
	v_mul_f64 v[221:222], v[91:92], s[10:11]
	v_mul_f64 v[203:204], v[95:96], s[16:17]
	v_mul_f64 v[223:224], v[99:100], s[6:7]
	v_mul_f64 v[165:166], v[103:104], s[40:41]
	v_add_f64 v[0:1], v[2:3], v[0:1]
	v_add_f64 v[2:3], v[6:7], v[4:5]
	v_fma_f64 v[4:5], v[93:94], s[10:11], -v[139:140]
	v_fma_f64 v[6:7], v[87:88], s[12:13], -v[163:164]
	;; [unrolled: 1-line block ×3, first 2 shown]
	v_fma_f64 v[16:17], v[89:90], s[36:37], v[219:220]
	v_mul_f64 v[205:206], v[123:124], s[26:27]
	v_mul_f64 v[157:158], v[107:108], s[30:31]
	;; [unrolled: 1-line block ×3, first 2 shown]
	v_fma_f64 v[18:19], v[87:88], s[10:11], -v[173:174]
	v_fma_f64 v[149:150], v[89:90], s[28:29], v[221:222]
	v_add_f64 v[0:1], v[4:5], v[0:1]
	v_fma_f64 v[4:5], v[97:98], s[18:19], v[141:142]
	v_add_f64 v[2:3], v[4:5], v[2:3]
	v_fma_f64 v[4:5], v[101:102], s[12:13], -v[145:146]
	v_add_f64 v[0:1], v[4:5], v[0:1]
	v_fma_f64 v[4:5], v[109:110], s[14:15], v[147:148]
	v_add_f64 v[2:3], v[4:5], v[2:3]
	v_fma_f64 v[4:5], v[105:106], s[22:23], -v[151:152]
	v_add_f64 v[0:1], v[4:5], v[0:1]
	v_fma_f64 v[4:5], v[115:116], s[24:25], v[155:156]
	v_add_f64 v[2:3], v[4:5], v[2:3]
	v_fma_f64 v[4:5], v[111:112], s[26:27], -v[161:162]
	v_add_f64 v[0:1], v[4:5], v[0:1]
	v_fma_f64 v[4:5], v[121:122], s[34:35], v[169:170]
	v_add_f64 v[2:3], v[4:5], v[2:3]
	v_fma_f64 v[4:5], v[127:128], s[6:7], -v[237:238]
	v_add_f64 v[4:5], v[28:29], v[4:5]
	v_add_f64 v[4:5], v[6:7], v[4:5]
	v_fma_f64 v[6:7], v[131:132], s[16:17], v[239:240]
	v_add_f64 v[6:7], v[30:31], v[6:7]
	v_add_f64 v[6:7], v[8:9], v[6:7]
	v_fma_f64 v[8:9], v[93:94], s[26:27], -v[167:168]
	v_add_f64 v[4:5], v[8:9], v[4:5]
	v_fma_f64 v[8:9], v[97:98], s[34:35], v[177:178]
	v_add_f64 v[6:7], v[8:9], v[6:7]
	v_fma_f64 v[8:9], v[101:102], s[22:23], -v[175:176]
	v_add_f64 v[4:5], v[8:9], v[4:5]
	v_fma_f64 v[8:9], v[109:110], s[36:37], v[185:186]
	v_add_f64 v[6:7], v[8:9], v[6:7]
	v_fma_f64 v[8:9], v[105:106], s[10:11], -v[179:180]
	v_add_f64 v[4:5], v[8:9], v[4:5]
	v_fma_f64 v[8:9], v[115:116], s[28:29], v[187:188]
	v_add_f64 v[6:7], v[8:9], v[6:7]
	v_fma_f64 v[8:9], v[111:112], s[4:5], -v[181:182]
	v_add_f64 v[4:5], v[8:9], v[4:5]
	v_fma_f64 v[8:9], v[121:122], s[30:31], v[189:190]
	v_add_f64 v[6:7], v[8:9], v[6:7]
	v_fma_f64 v[8:9], v[127:128], s[10:11], -v[241:242]
	v_add_f64 v[8:9], v[28:29], v[8:9]
	v_add_f64 v[8:9], v[10:11], v[8:9]
	v_fma_f64 v[10:11], v[131:132], s[18:19], v[243:244]
	v_add_f64 v[10:11], v[30:31], v[10:11]
	v_add_f64 v[10:11], v[12:13], v[10:11]
	v_fma_f64 v[12:13], v[93:94], s[12:13], -v[193:194]
	;; [unrolled: 22-line block ×4, first 2 shown]
	v_add_f64 v[16:17], v[149:150], v[16:17]
	v_fma_f64 v[149:150], v[97:98], s[16:17], v[223:224]
	v_add_f64 v[18:19], v[149:150], v[18:19]
	v_fma_f64 v[149:150], v[101:102], s[26:27], -v[165:166]
	v_add_f64 v[16:17], v[149:150], v[16:17]
	v_fma_f64 v[149:150], v[109:110], s[40:41], v[205:206]
	v_add_f64 v[18:19], v[149:150], v[18:19]
	v_fma_f64 v[149:150], v[105:106], s[4:5], -v[157:158]
	v_add_f64 v[16:17], v[149:150], v[16:17]
	v_fma_f64 v[149:150], v[115:116], s[30:31], v[159:160]
	v_add_f64 v[18:19], v[149:150], v[18:19]
	v_mul_f64 v[149:150], v[117:118], s[14:15]
	v_fma_f64 v[153:154], v[111:112], s[12:13], -v[149:150]
	v_add_f64 v[16:17], v[153:154], v[16:17]
	v_mul_f64 v[153:154], v[143:144], s[12:13]
	v_fma_f64 v[253:254], v[121:122], s[14:15], v[153:154]
	v_add_f64 v[18:19], v[253:254], v[18:19]
	v_cmpx_gt_u32_e32 0x70, v72
	s_cbranch_execz .LBB0_19
; %bb.18:
	v_add_f64 v[36:37], v[28:29], v[36:37]
	v_add_f64 v[38:39], v[30:31], v[38:39]
	v_mul_f64 v[85:86], v[85:86], s[30:31]
	v_mul_f64 v[95:96], v[95:96], s[24:25]
	v_add_f64 v[36:37], v[36:37], v[48:49]
	v_add_f64 v[38:39], v[38:39], v[50:51]
	v_mul_f64 v[48:49], v[131:132], s[20:21]
	v_mul_f64 v[50:51], v[113:114], s[34:35]
	;; [unrolled: 1-line block ×3, first 2 shown]
	v_add_f64 v[36:37], v[36:37], v[52:53]
	v_add_f64 v[38:39], v[38:39], v[54:55]
	v_mul_f64 v[54:55], v[127:128], s[4:5]
	v_add_f64 v[48:49], v[133:134], -v[48:49]
	v_fma_f64 v[52:53], v[127:128], s[26:27], -v[50:51]
	v_fma_f64 v[50:51], v[127:128], s[26:27], v[50:51]
	v_add_f64 v[113:114], v[219:220], -v[113:114]
	v_mul_f64 v[133:134], v[115:116], s[40:41]
	v_add_f64 v[36:37], v[36:37], v[56:57]
	v_add_f64 v[38:39], v[38:39], v[58:59]
	;; [unrolled: 1-line block ×3, first 2 shown]
	v_mul_f64 v[129:130], v[109:110], s[18:19]
	v_add_f64 v[52:53], v[28:29], v[52:53]
	v_add_f64 v[50:51], v[28:29], v[50:51]
	v_add_f64 v[133:134], v[233:234], -v[133:134]
	v_add_f64 v[36:37], v[36:37], v[64:65]
	v_add_f64 v[38:39], v[38:39], v[66:67]
	v_mul_f64 v[64:65], v[115:116], s[24:25]
	v_mul_f64 v[66:67], v[105:106], s[6:7]
	v_add_f64 v[129:130], v[231:232], -v[129:130]
	v_add_f64 v[36:37], v[36:37], v[68:69]
	v_add_f64 v[38:39], v[38:39], v[70:71]
	v_add_f64 v[64:65], v[155:156], -v[64:65]
	v_add_f64 v[66:67], v[66:67], v[201:202]
	v_mul_f64 v[68:69], v[121:122], s[24:25]
	v_mul_f64 v[70:71], v[111:112], s[22:23]
	v_add_f64 v[36:37], v[36:37], v[60:61]
	v_add_f64 v[38:39], v[38:39], v[62:63]
	v_mul_f64 v[60:61], v[109:110], s[14:15]
	v_mul_f64 v[62:63], v[101:102], s[12:13]
	v_add_f64 v[68:69], v[213:214], -v[68:69]
	v_add_f64 v[70:71], v[70:71], v[195:196]
	v_add_f64 v[36:37], v[36:37], v[44:45]
	;; [unrolled: 1-line block ×3, first 2 shown]
	v_mul_f64 v[44:45], v[131:132], s[16:17]
	v_mul_f64 v[46:47], v[127:128], s[6:7]
	v_add_f64 v[60:61], v[147:148], -v[60:61]
	v_add_f64 v[62:63], v[62:63], v[145:146]
	v_mul_f64 v[145:146], v[89:90], s[30:31]
	v_add_f64 v[36:37], v[36:37], v[40:41]
	v_add_f64 v[38:39], v[38:39], v[42:43]
	v_mul_f64 v[40:41], v[131:132], s[18:19]
	v_mul_f64 v[42:43], v[127:128], s[10:11]
	v_add_f64 v[44:45], v[239:240], -v[44:45]
	v_add_f64 v[46:47], v[46:47], v[237:238]
	v_fma_f64 v[147:148], v[91:92], s[4:5], v[145:146]
	v_fma_f64 v[91:92], v[91:92], s[4:5], -v[145:146]
	v_mul_f64 v[145:146], v[97:98], s[24:25]
	v_add_f64 v[32:33], v[36:37], v[32:33]
	v_add_f64 v[34:35], v[38:39], v[34:35]
	v_mul_f64 v[36:37], v[131:132], s[14:15]
	v_mul_f64 v[38:39], v[127:128], s[12:13]
	v_add_f64 v[40:41], v[243:244], -v[40:41]
	v_add_f64 v[42:43], v[42:43], v[241:242]
	v_add_f64 v[44:45], v[30:31], v[44:45]
	;; [unrolled: 1-line block ×5, first 2 shown]
	v_mul_f64 v[32:33], v[131:132], s[24:25]
	v_mul_f64 v[34:35], v[127:128], s[22:23]
	v_add_f64 v[36:37], v[247:248], -v[36:37]
	v_add_f64 v[38:39], v[38:39], v[245:246]
	v_add_f64 v[40:41], v[30:31], v[40:41]
	;; [unrolled: 1-line block ×3, first 2 shown]
	v_mul_f64 v[127:128], v[93:94], s[4:5]
	v_add_f64 v[20:21], v[24:25], v[20:21]
	v_mul_f64 v[24:25], v[131:132], s[34:35]
	v_add_f64 v[22:23], v[26:27], v[22:23]
	v_add_f64 v[32:33], v[251:252], -v[32:33]
	v_add_f64 v[34:35], v[34:35], v[249:250]
	v_add_f64 v[36:37], v[30:31], v[36:37]
	;; [unrolled: 1-line block ×3, first 2 shown]
	v_mul_f64 v[131:132], v[101:102], s[10:11]
	v_add_f64 v[127:128], v[127:128], v[209:210]
	v_fma_f64 v[26:27], v[135:136], s[26:27], v[24:25]
	v_fma_f64 v[24:25], v[135:136], s[26:27], -v[24:25]
	v_add_f64 v[32:33], v[30:31], v[32:33]
	v_add_f64 v[34:35], v[28:29], v[34:35]
	v_add_f64 v[36:37], v[113:114], v[36:37]
	v_mul_f64 v[135:136], v[105:106], s[26:27]
	v_add_f64 v[131:132], v[131:132], v[215:216]
	v_add_f64 v[56:57], v[30:31], v[26:27]
	;; [unrolled: 1-line block ×5, first 2 shown]
	v_mul_f64 v[28:29], v[89:90], s[16:17]
	v_mul_f64 v[30:31], v[87:88], s[6:7]
	;; [unrolled: 1-line block ×4, first 2 shown]
	v_add_f64 v[135:136], v[135:136], v[225:226]
	v_add_f64 v[28:29], v[125:126], -v[28:29]
	v_add_f64 v[30:31], v[30:31], v[119:120]
	v_add_f64 v[48:49], v[141:142], -v[48:49]
	v_add_f64 v[54:55], v[54:55], v[139:140]
	v_mul_f64 v[119:120], v[97:98], s[30:31]
	v_mul_f64 v[125:126], v[87:88], s[22:23]
	;; [unrolled: 1-line block ×4, first 2 shown]
	v_add_f64 v[24:25], v[28:29], v[24:25]
	v_add_f64 v[26:27], v[30:31], v[26:27]
	v_mul_f64 v[28:29], v[105:106], s[22:23]
	v_mul_f64 v[30:31], v[121:122], s[34:35]
	v_add_f64 v[119:120], v[229:230], -v[119:120]
	v_add_f64 v[125:126], v[125:126], v[191:192]
	v_add_f64 v[139:140], v[235:236], -v[139:140]
	v_add_f64 v[141:142], v[141:142], v[227:228]
	v_add_f64 v[24:25], v[48:49], v[24:25]
	;; [unrolled: 1-line block ×4, first 2 shown]
	v_mul_f64 v[48:49], v[111:112], s[26:27]
	v_add_f64 v[30:31], v[169:170], -v[30:31]
	v_mul_f64 v[54:55], v[93:94], s[26:27]
	v_fma_f64 v[151:152], v[99:100], s[22:23], v[145:146]
	v_fma_f64 v[99:100], v[99:100], s[22:23], -v[145:146]
	v_mul_f64 v[145:146], v[109:110], s[38:39]
	v_add_f64 v[38:39], v[125:126], v[38:39]
	v_add_f64 v[36:37], v[119:120], v[36:37]
	;; [unrolled: 1-line block ×4, first 2 shown]
	v_mul_f64 v[60:61], v[109:110], s[36:37]
	v_add_f64 v[48:49], v[48:49], v[161:162]
	v_mul_f64 v[62:63], v[101:102], s[22:23]
	v_add_f64 v[54:55], v[54:55], v[167:168]
	v_fma_f64 v[167:168], v[87:88], s[4:5], -v[85:86]
	v_fma_f64 v[85:86], v[87:88], s[4:5], v[85:86]
	v_fma_f64 v[155:156], v[123:124], s[6:7], v[145:146]
	v_fma_f64 v[123:124], v[123:124], s[6:7], -v[145:146]
	v_mul_f64 v[145:146], v[115:116], s[14:15]
	v_add_f64 v[38:39], v[127:128], v[38:39]
	v_add_f64 v[36:37], v[129:130], v[36:37]
	;; [unrolled: 1-line block ×4, first 2 shown]
	v_add_f64 v[60:61], v[185:186], -v[60:61]
	v_mul_f64 v[64:65], v[115:116], s[28:29]
	v_add_f64 v[62:63], v[62:63], v[175:176]
	v_add_f64 v[52:53], v[167:168], v[52:53]
	;; [unrolled: 1-line block ×3, first 2 shown]
	v_fma_f64 v[161:162], v[137:138], s[12:13], v[145:146]
	v_fma_f64 v[137:138], v[137:138], s[12:13], -v[145:146]
	v_mul_f64 v[145:146], v[121:122], s[28:29]
	v_add_f64 v[38:39], v[131:132], v[38:39]
	v_add_f64 v[36:37], v[133:134], v[36:37]
	;; [unrolled: 1-line block ×4, first 2 shown]
	v_mul_f64 v[28:29], v[89:90], s[14:15]
	v_mul_f64 v[30:31], v[87:88], s[12:13]
	;; [unrolled: 1-line block ×3, first 2 shown]
	v_add_f64 v[64:65], v[187:188], -v[64:65]
	v_add_f64 v[28:29], v[171:172], -v[28:29]
	v_add_f64 v[30:31], v[30:31], v[163:164]
	v_add_f64 v[48:49], v[177:178], -v[48:49]
	v_fma_f64 v[163:164], v[143:144], s[10:11], v[145:146]
	v_fma_f64 v[143:144], v[143:144], s[10:11], -v[145:146]
	v_fma_f64 v[145:146], v[93:94], s[22:23], -v[95:96]
	v_fma_f64 v[95:96], v[93:94], s[22:23], v[95:96]
	v_add_f64 v[28:29], v[28:29], v[44:45]
	v_add_f64 v[30:31], v[30:31], v[46:47]
	v_mul_f64 v[44:45], v[105:106], s[10:11]
	v_mul_f64 v[46:47], v[121:122], s[30:31]
	v_add_f64 v[52:53], v[145:146], v[52:53]
	v_add_f64 v[50:51], v[95:96], v[50:51]
	;; [unrolled: 1-line block ×5, first 2 shown]
	v_mul_f64 v[48:49], v[111:112], s[4:5]
	v_add_f64 v[46:47], v[189:190], -v[46:47]
	v_mul_f64 v[54:55], v[93:94], s[12:13]
	v_mul_f64 v[93:94], v[93:94], s[6:7]
	v_add_f64 v[28:29], v[60:61], v[28:29]
	v_add_f64 v[30:31], v[62:63], v[30:31]
	v_mul_f64 v[60:61], v[109:110], s[30:31]
	v_add_f64 v[48:49], v[48:49], v[181:182]
	v_mul_f64 v[109:110], v[109:110], s[40:41]
	;; [unrolled: 2-line block ×3, first 2 shown]
	v_add_f64 v[93:94], v[93:94], v[203:204]
	v_add_f64 v[28:29], v[64:65], v[28:29]
	;; [unrolled: 1-line block ×3, first 2 shown]
	v_add_f64 v[60:61], v[211:212], -v[60:61]
	v_mul_f64 v[64:65], v[115:116], s[16:17]
	v_add_f64 v[109:110], v[205:206], -v[109:110]
	v_add_f64 v[62:63], v[62:63], v[199:200]
	v_add_f64 v[30:31], v[46:47], v[28:29]
	;; [unrolled: 1-line block ×3, first 2 shown]
	v_mul_f64 v[44:45], v[89:90], s[34:35]
	v_mul_f64 v[89:90], v[89:90], s[28:29]
	;; [unrolled: 1-line block ×6, first 2 shown]
	v_add_f64 v[64:65], v[217:218], -v[64:65]
	v_add_f64 v[44:45], v[197:198], -v[44:45]
	;; [unrolled: 1-line block ×3, first 2 shown]
	v_add_f64 v[46:47], v[46:47], v[183:184]
	v_add_f64 v[48:49], v[207:208], -v[48:49]
	v_add_f64 v[97:98], v[223:224], -v[97:98]
	v_add_f64 v[87:88], v[87:88], v[173:174]
	v_add_f64 v[40:41], v[44:45], v[40:41]
	;; [unrolled: 1-line block ×6, first 2 shown]
	v_mul_f64 v[56:57], v[103:104], s[38:39]
	v_mul_f64 v[91:92], v[101:102], s[26:27]
	v_add_f64 v[34:35], v[87:88], v[34:35]
	v_add_f64 v[40:41], v[48:49], v[40:41]
	v_mul_f64 v[48:49], v[115:116], s[30:31]
	v_add_f64 v[32:33], v[97:98], v[32:33]
	v_add_f64 v[42:43], v[54:55], v[42:43]
	;; [unrolled: 1-line block ×3, first 2 shown]
	v_fma_f64 v[58:59], v[101:102], s[6:7], -v[56:57]
	v_fma_f64 v[56:57], v[101:102], s[6:7], v[56:57]
	v_add_f64 v[91:92], v[91:92], v[165:166]
	v_add_f64 v[34:35], v[93:94], v[34:35]
	;; [unrolled: 1-line block ×3, first 2 shown]
	v_mul_f64 v[54:55], v[107:108], s[14:15]
	v_add_f64 v[40:41], v[60:61], v[40:41]
	v_add_f64 v[48:49], v[159:160], -v[48:49]
	v_add_f64 v[32:33], v[109:110], v[32:33]
	v_add_f64 v[42:43], v[62:63], v[42:43]
	v_mul_f64 v[62:63], v[105:106], s[4:5]
	v_add_f64 v[44:45], v[155:156], v[44:45]
	v_add_f64 v[50:51], v[56:57], v[50:51]
	;; [unrolled: 1-line block ×4, first 2 shown]
	v_mul_f64 v[38:39], v[121:122], s[14:15]
	v_add_f64 v[46:47], v[123:124], v[46:47]
	v_fma_f64 v[60:61], v[105:106], s[12:13], -v[54:55]
	v_fma_f64 v[54:55], v[105:106], s[12:13], v[54:55]
	v_add_f64 v[52:53], v[58:59], v[52:53]
	v_add_f64 v[40:41], v[64:65], v[40:41]
	;; [unrolled: 1-line block ×3, first 2 shown]
	v_mul_f64 v[32:33], v[117:118], s[28:29]
	v_add_f64 v[62:63], v[62:63], v[157:158]
	v_add_f64 v[42:43], v[66:67], v[42:43]
	;; [unrolled: 1-line block ×3, first 2 shown]
	v_add_f64 v[58:59], v[153:154], -v[38:39]
	v_add_f64 v[46:47], v[137:138], v[46:47]
	v_add_f64 v[38:39], v[139:140], v[36:37]
	;; [unrolled: 1-line block ×5, first 2 shown]
	v_fma_f64 v[64:65], v[111:112], s[10:11], -v[32:33]
	v_fma_f64 v[66:67], v[111:112], s[10:11], v[32:33]
	v_mul_f64 v[32:33], v[111:112], s[12:13]
	v_add_f64 v[62:63], v[62:63], v[34:35]
	v_add_f64 v[34:35], v[68:69], v[40:41]
	;; [unrolled: 1-line block ×5, first 2 shown]
	v_mad_u32_u24 v52, 0xc0, v72, v73
	v_add_f64 v[85:86], v[32:33], v[149:150]
	v_add_f64 v[32:33], v[70:71], v[42:43]
	;; [unrolled: 1-line block ×5, first 2 shown]
	ds_write_b128 v52, v[20:23]
	ds_write_b128 v52, v[24:27] offset:16
	ds_write_b128 v52, v[28:31] offset:32
	;; [unrolled: 1-line block ×12, first 2 shown]
.LBB0_19:
	s_or_b32 exec_lo, exec_lo, s1
	v_and_b32_e32 v20, 0xff, v72
	s_waitcnt lgkmcnt(0)
	s_barrier
	buffer_gl0_inv
	v_mov_b32_e32 v56, 4
	v_mul_lo_u16 v57, 0x4f, v20
	v_mov_b32_e32 v20, 0x4ec5
	v_cmp_gt_u32_e64 s0, 26, v72
	v_lshrrev_b16 v103, 10, v57
	v_mul_u32_u24_sdwa v20, v84, v20 dst_sel:DWORD dst_unused:UNUSED_PAD src0_sel:WORD_0 src1_sel:DWORD
	v_mul_lo_u16 v21, v103, 13
	v_lshrrev_b32_e32 v104, 18, v20
	v_mov_b32_e32 v20, 3
	v_sub_nc_u16 v105, v72, v21
	v_mul_lo_u16 v21, v104, 13
	v_mul_u32_u24_sdwa v22, v105, v20 dst_sel:DWORD dst_unused:UNUSED_PAD src0_sel:BYTE_0 src1_sel:DWORD
	v_sub_nc_u16 v106, v84, v21
	v_lshlrev_b32_e32 v28, 4, v22
	v_mul_u32_u24_sdwa v24, v106, v20 dst_sel:DWORD dst_unused:UNUSED_PAD src0_sel:WORD_0 src1_sel:DWORD
	global_load_dwordx4 v[20:23], v28, s[8:9]
	v_lshlrev_b32_e32 v40, 4, v24
	s_clause 0x4
	global_load_dwordx4 v[24:27], v28, s[8:9] offset:16
	global_load_dwordx4 v[28:31], v28, s[8:9] offset:32
	global_load_dwordx4 v[32:35], v40, s[8:9]
	global_load_dwordx4 v[36:39], v40, s[8:9] offset:16
	global_load_dwordx4 v[40:43], v40, s[8:9] offset:32
	ds_read_b128 v[44:47], v73 offset:5824
	ds_read_b128 v[48:51], v73 offset:11648
	;; [unrolled: 1-line block ×6, first 2 shown]
	ds_read_b128 v[85:88], v73
	ds_read_b128 v[89:92], v73 offset:2912
	s_waitcnt vmcnt(0) lgkmcnt(0)
	s_barrier
	buffer_gl0_inv
	v_mul_f64 v[93:94], v[50:51], v[26:27]
	v_mul_f64 v[70:71], v[46:47], v[22:23]
	;; [unrolled: 1-line block ×12, first 2 shown]
	v_fma_f64 v[44:45], v[44:45], v[20:21], v[70:71]
	v_fma_f64 v[20:21], v[46:47], v[20:21], -v[22:23]
	v_fma_f64 v[22:23], v[48:49], v[24:25], v[93:94]
	v_fma_f64 v[24:25], v[50:51], v[24:25], -v[26:27]
	;; [unrolled: 2-line block ×6, first 2 shown]
	v_mov_b32_e32 v62, 0x340
	v_add_f64 v[42:43], v[85:86], -v[22:23]
	v_add_f64 v[46:47], v[87:88], -v[24:25]
	;; [unrolled: 1-line block ×8, first 2 shown]
	v_fma_f64 v[50:51], v[85:86], 2.0, -v[42:43]
	v_fma_f64 v[54:55], v[87:88], 2.0, -v[46:47]
	;; [unrolled: 1-line block ×4, first 2 shown]
	v_add_f64 v[24:25], v[42:43], v[24:25]
	v_add_f64 v[26:27], v[46:47], -v[22:23]
	v_fma_f64 v[58:59], v[89:90], 2.0, -v[48:49]
	v_fma_f64 v[60:61], v[91:92], 2.0, -v[52:53]
	;; [unrolled: 1-line block ×4, first 2 shown]
	v_add_f64 v[20:21], v[48:49], v[28:29]
	v_add_f64 v[22:23], v[52:53], -v[36:37]
	v_add_f64 v[28:29], v[50:51], -v[34:35]
	;; [unrolled: 1-line block ×3, first 2 shown]
	v_fma_f64 v[36:37], v[42:43], 2.0, -v[24:25]
	v_fma_f64 v[38:39], v[46:47], 2.0, -v[26:27]
	v_add_f64 v[32:33], v[58:59], -v[40:41]
	v_add_f64 v[34:35], v[60:61], -v[44:45]
	v_fma_f64 v[40:41], v[48:49], 2.0, -v[20:21]
	v_fma_f64 v[42:43], v[52:53], 2.0, -v[22:23]
	v_mul_u32_u24_sdwa v52, v103, v62 dst_sel:DWORD dst_unused:UNUSED_PAD src0_sel:WORD_0 src1_sel:DWORD
	v_mul_u32_u24_e32 v53, 0x340, v104
	v_fma_f64 v[44:45], v[50:51], 2.0, -v[28:29]
	v_fma_f64 v[46:47], v[54:55], 2.0, -v[30:31]
	v_lshlrev_b32_sdwa v54, v56, v105 dst_sel:DWORD dst_unused:UNUSED_PAD src0_sel:DWORD src1_sel:BYTE_0
	v_lshlrev_b32_sdwa v55, v56, v106 dst_sel:DWORD dst_unused:UNUSED_PAD src0_sel:DWORD src1_sel:WORD_0
	v_fma_f64 v[48:49], v[58:59], 2.0, -v[32:33]
	v_fma_f64 v[50:51], v[60:61], 2.0, -v[34:35]
	v_add3_u32 v52, 0, v52, v54
	v_add3_u32 v53, 0, v53, v55
	ds_write_b128 v52, v[24:27] offset:624
	ds_write_b128 v52, v[36:39] offset:208
	;; [unrolled: 1-line block ×3, first 2 shown]
	ds_write_b128 v52, v[44:47]
	ds_write_b128 v53, v[48:51]
	ds_write_b128 v53, v[40:43] offset:208
	ds_write_b128 v53, v[32:35] offset:416
	;; [unrolled: 1-line block ×3, first 2 shown]
	s_waitcnt lgkmcnt(0)
	s_barrier
	buffer_gl0_inv
	ds_read_b128 v[28:31], v73
	ds_read_b128 v[48:51], v73 offset:3328
	ds_read_b128 v[44:47], v73 offset:6656
	ds_read_b128 v[36:39], v73 offset:9984
	ds_read_b128 v[32:35], v73 offset:13312
	ds_read_b128 v[40:43], v73 offset:16640
	ds_read_b128 v[52:55], v73 offset:19968
                                        ; implicit-def: $vgpr26_vgpr27
	s_and_saveexec_b32 s1, s0
	s_cbranch_execz .LBB0_21
; %bb.20:
	ds_read_b128 v[20:23], v73 offset:2912
	ds_read_b128 v[16:19], v73 offset:6240
	;; [unrolled: 1-line block ×7, first 2 shown]
.LBB0_21:
	s_or_b32 exec_lo, exec_lo, s1
	v_lshrrev_b16 v71, 12, v57
	v_mov_b32_e32 v58, 6
	s_mov_b32 s10, 0x37e14327
	s_mov_b32 s14, 0xe976ee23
	s_mov_b32 s11, 0x3fe948f6
	v_mul_lo_u16 v57, v71, 52
	s_mov_b32 s15, 0x3fe11646
	s_mov_b32 s6, 0x429ad128
	;; [unrolled: 1-line block ×4, first 2 shown]
	v_sub_nc_u16 v107, v72, v57
	s_mov_b32 s5, 0x3fac98ee
	s_mov_b32 s12, 0xaaaaaaaa
	;; [unrolled: 1-line block ×4, first 2 shown]
	v_mul_u32_u24_sdwa v57, v107, v58 dst_sel:DWORD dst_unused:UNUSED_PAD src0_sel:BYTE_0 src1_sel:DWORD
	s_mov_b32 s16, 0x5476071b
	s_mov_b32 s21, 0xbfd5d0dc
	;; [unrolled: 1-line block ×4, first 2 shown]
	v_lshlrev_b32_e32 v69, 4, v57
	s_mov_b32 s23, 0x3fd5d0dc
	s_mov_b32 s18, s16
	;; [unrolled: 1-line block ×4, first 2 shown]
	s_clause 0x5
	global_load_dwordx4 v[57:60], v69, s[8:9] offset:624
	global_load_dwordx4 v[61:64], v69, s[8:9] offset:640
	;; [unrolled: 1-line block ×6, first 2 shown]
	s_mov_b32 s25, 0xbfdc38aa
	v_lshlrev_b32_sdwa v56, v56, v107 dst_sel:DWORD dst_unused:UNUSED_PAD src0_sel:DWORD src1_sel:BYTE_0
	s_waitcnt vmcnt(0) lgkmcnt(0)
	s_barrier
	buffer_gl0_inv
	v_mul_f64 v[69:70], v[50:51], v[59:60]
	v_mul_f64 v[59:60], v[48:49], v[59:60]
	v_mul_f64 v[97:98], v[46:47], v[63:64]
	v_mul_f64 v[63:64], v[44:45], v[63:64]
	v_mul_f64 v[99:100], v[54:55], v[67:68]
	v_mul_f64 v[67:68], v[52:53], v[67:68]
	v_mul_f64 v[101:102], v[42:43], v[87:88]
	v_mul_f64 v[87:88], v[40:41], v[87:88]
	v_mul_f64 v[103:104], v[38:39], v[91:92]
	v_mul_f64 v[91:92], v[36:37], v[91:92]
	v_mul_f64 v[105:106], v[34:35], v[95:96]
	v_mul_f64 v[95:96], v[32:33], v[95:96]
	v_fma_f64 v[48:49], v[48:49], v[57:58], v[69:70]
	v_fma_f64 v[50:51], v[50:51], v[57:58], -v[59:60]
	v_fma_f64 v[44:45], v[44:45], v[61:62], v[97:98]
	v_fma_f64 v[46:47], v[46:47], v[61:62], -v[63:64]
	;; [unrolled: 2-line block ×6, first 2 shown]
	v_add_f64 v[57:58], v[48:49], v[52:53]
	v_add_f64 v[59:60], v[50:51], v[54:55]
	;; [unrolled: 1-line block ×4, first 2 shown]
	v_add_f64 v[40:41], v[44:45], -v[40:41]
	v_add_f64 v[42:43], v[46:47], -v[42:43]
	v_add_f64 v[44:45], v[36:37], v[32:33]
	v_add_f64 v[46:47], v[38:39], v[34:35]
	v_add_f64 v[32:33], v[32:33], -v[36:37]
	v_add_f64 v[34:35], v[34:35], -v[38:39]
	;; [unrolled: 1-line block ×4, first 2 shown]
	v_add_f64 v[48:49], v[61:62], v[57:58]
	v_add_f64 v[50:51], v[63:64], v[59:60]
	v_add_f64 v[52:53], v[57:58], -v[44:45]
	v_add_f64 v[54:55], v[59:60], -v[46:47]
	;; [unrolled: 1-line block ×6, first 2 shown]
	v_add_f64 v[40:41], v[32:33], v[40:41]
	v_add_f64 v[42:43], v[34:35], v[42:43]
	v_add_f64 v[32:33], v[36:37], -v[32:33]
	v_add_f64 v[34:35], v[38:39], -v[34:35]
	v_add_f64 v[57:58], v[61:62], -v[57:58]
	v_add_f64 v[59:60], v[63:64], -v[59:60]
	v_add_f64 v[48:49], v[44:45], v[48:49]
	v_add_f64 v[50:51], v[46:47], v[50:51]
	v_add_f64 v[44:45], v[44:45], -v[61:62]
	v_add_f64 v[46:47], v[46:47], -v[63:64]
	v_mul_f64 v[52:53], v[52:53], s[10:11]
	v_mul_f64 v[54:55], v[54:55], s[10:11]
	v_mul_f64 v[65:66], v[65:66], s[14:15]
	v_mul_f64 v[67:68], v[67:68], s[14:15]
	v_mul_f64 v[87:88], v[69:70], s[6:7]
	v_mul_f64 v[89:90], v[85:86], s[6:7]
	v_add_f64 v[36:37], v[40:41], v[36:37]
	v_add_f64 v[38:39], v[42:43], v[38:39]
	;; [unrolled: 1-line block ×4, first 2 shown]
	v_mul_f64 v[61:62], v[44:45], s[4:5]
	v_mul_f64 v[63:64], v[46:47], s[4:5]
	v_fma_f64 v[40:41], v[44:45], s[4:5], v[52:53]
	v_fma_f64 v[42:43], v[46:47], s[4:5], v[54:55]
	;; [unrolled: 1-line block ×4, first 2 shown]
	v_fma_f64 v[65:66], v[69:70], s[6:7], -v[65:66]
	v_fma_f64 v[67:68], v[85:86], s[6:7], -v[67:68]
	;; [unrolled: 1-line block ×6, first 2 shown]
	v_fma_f64 v[48:49], v[48:49], s[12:13], v[28:29]
	v_fma_f64 v[50:51], v[50:51], s[12:13], v[30:31]
	v_fma_f64 v[57:58], v[57:58], s[16:17], -v[61:62]
	v_fma_f64 v[59:60], v[59:60], s[16:17], -v[63:64]
	v_fma_f64 v[61:62], v[36:37], s[24:25], v[44:45]
	v_fma_f64 v[63:64], v[38:39], s[24:25], v[46:47]
	;; [unrolled: 1-line block ×6, first 2 shown]
	v_add_f64 v[69:70], v[40:41], v[48:49]
	v_add_f64 v[85:86], v[42:43], v[50:51]
	;; [unrolled: 1-line block ×6, first 2 shown]
	v_mov_b32_e32 v57, 0x16c0
	v_mul_u32_u24_sdwa v57, v71, v57 dst_sel:DWORD dst_unused:UNUSED_PAD src0_sel:WORD_0 src1_sel:DWORD
	v_add3_u32 v56, 0, v57, v56
	v_add_f64 v[32:33], v[63:64], v[69:70]
	v_add_f64 v[34:35], v[85:86], -v[61:62]
	v_add_f64 v[36:37], v[67:68], v[52:53]
	v_add_f64 v[38:39], v[54:55], -v[65:66]
	v_add_f64 v[40:41], v[48:49], -v[44:45]
	v_add_f64 v[42:43], v[46:47], v[50:51]
	v_add_f64 v[44:45], v[44:45], v[48:49]
	v_add_f64 v[46:47], v[50:51], -v[46:47]
	v_add_f64 v[48:49], v[52:53], -v[67:68]
	v_add_f64 v[50:51], v[65:66], v[54:55]
	v_add_f64 v[52:53], v[69:70], -v[63:64]
	v_add_f64 v[54:55], v[61:62], v[85:86]
	ds_write_b128 v56, v[28:31]
	ds_write_b128 v56, v[32:35] offset:832
	ds_write_b128 v56, v[36:39] offset:1664
	;; [unrolled: 1-line block ×6, first 2 shown]
	s_and_saveexec_b32 s1, s0
	s_cbranch_execz .LBB0_23
; %bb.22:
	v_mov_b32_e32 v28, 0x4ec5
	v_mul_u32_u24_sdwa v28, v84, v28 dst_sel:DWORD dst_unused:UNUSED_PAD src0_sel:WORD_0 src1_sel:DWORD
	v_lshrrev_b32_e32 v28, 20, v28
	v_mul_lo_u16 v28, v28, 52
	v_sub_nc_u16 v28, v84, v28
	v_and_b32_e32 v64, 0xffff, v28
	v_mul_u32_u24_e32 v28, 6, v64
	v_lshlrev_b32_e32 v48, 4, v28
	s_clause 0x5
	global_load_dwordx4 v[28:31], v48, s[8:9] offset:640
	global_load_dwordx4 v[32:35], v48, s[8:9] offset:688
	;; [unrolled: 1-line block ×6, first 2 shown]
	s_waitcnt vmcnt(5)
	v_mul_f64 v[52:53], v[12:13], v[30:31]
	s_waitcnt vmcnt(4)
	v_mul_f64 v[54:55], v[0:1], v[34:35]
	;; [unrolled: 2-line block ×4, first 2 shown]
	v_mul_f64 v[30:31], v[14:15], v[30:31]
	v_mul_f64 v[34:35], v[2:3], v[34:35]
	;; [unrolled: 1-line block ×4, first 2 shown]
	s_waitcnt vmcnt(1)
	v_mul_f64 v[60:61], v[6:7], v[46:47]
	s_waitcnt vmcnt(0)
	v_mul_f64 v[62:63], v[10:11], v[50:51]
	v_mul_f64 v[50:51], v[8:9], v[50:51]
	;; [unrolled: 1-line block ×3, first 2 shown]
	v_fma_f64 v[14:15], v[14:15], v[28:29], -v[52:53]
	v_fma_f64 v[2:3], v[2:3], v[32:33], -v[54:55]
	;; [unrolled: 1-line block ×4, first 2 shown]
	v_fma_f64 v[12:13], v[12:13], v[28:29], v[30:31]
	v_fma_f64 v[0:1], v[0:1], v[32:33], v[34:35]
	;; [unrolled: 1-line block ×6, first 2 shown]
	v_fma_f64 v[10:11], v[10:11], v[48:49], -v[50:51]
	v_fma_f64 v[6:7], v[6:7], v[44:45], -v[46:47]
	v_add_f64 v[28:29], v[14:15], v[2:3]
	v_add_f64 v[2:3], v[14:15], -v[2:3]
	v_add_f64 v[30:31], v[18:19], v[26:27]
	v_add_f64 v[32:33], v[12:13], v[0:1]
	v_add_f64 v[0:1], v[12:13], -v[0:1]
	v_add_f64 v[34:35], v[16:17], v[24:25]
	v_add_f64 v[36:37], v[4:5], -v[8:9]
	v_add_f64 v[4:5], v[8:9], v[4:5]
	v_add_f64 v[12:13], v[10:11], v[6:7]
	v_add_f64 v[8:9], v[16:17], -v[24:25]
	v_add_f64 v[6:7], v[6:7], -v[10:11]
	;; [unrolled: 1-line block ×3, first 2 shown]
	v_add_f64 v[16:17], v[28:29], v[30:31]
	v_add_f64 v[14:15], v[32:33], v[34:35]
	v_add_f64 v[18:19], v[36:37], -v[0:1]
	v_add_f64 v[26:27], v[34:35], -v[4:5]
	;; [unrolled: 1-line block ×6, first 2 shown]
	v_add_f64 v[44:45], v[36:37], v[0:1]
	v_add_f64 v[36:37], v[8:9], -v[36:37]
	v_add_f64 v[46:47], v[6:7], v[2:3]
	v_add_f64 v[6:7], v[10:11], -v[6:7]
	;; [unrolled: 2-line block ×4, first 2 shown]
	v_mul_f64 v[18:19], v[18:19], s[14:15]
	v_mul_f64 v[26:27], v[26:27], s[10:11]
	;; [unrolled: 1-line block ×4, first 2 shown]
	v_add_f64 v[8:9], v[44:45], v[8:9]
	v_add_f64 v[10:11], v[46:47], v[10:11]
	;; [unrolled: 1-line block ×3, first 2 shown]
	v_add_f64 v[22:23], v[28:29], -v[30:31]
	v_mul_f64 v[28:29], v[12:13], s[4:5]
	v_mul_f64 v[30:31], v[40:41], s[14:15]
	v_add_f64 v[0:1], v[20:21], v[14:15]
	v_mul_f64 v[40:41], v[42:43], s[6:7]
	v_add_f64 v[20:21], v[32:33], -v[34:35]
	v_mul_f64 v[32:33], v[4:5], s[4:5]
	v_fma_f64 v[34:35], v[36:37], s[20:21], v[18:19]
	v_fma_f64 v[12:13], v[12:13], s[4:5], v[24:25]
	;; [unrolled: 1-line block ×3, first 2 shown]
	v_fma_f64 v[36:37], v[36:37], s[22:23], -v[48:49]
	v_fma_f64 v[18:19], v[38:39], s[6:7], -v[18:19]
	v_fma_f64 v[16:17], v[16:17], s[12:13], v[2:3]
	v_fma_f64 v[24:25], v[22:23], s[18:19], -v[24:25]
	v_fma_f64 v[22:23], v[22:23], s[16:17], -v[28:29]
	v_fma_f64 v[28:29], v[6:7], s[20:21], v[30:31]
	v_fma_f64 v[14:15], v[14:15], s[12:13], v[0:1]
	v_fma_f64 v[6:7], v[6:7], s[22:23], -v[40:41]
	v_fma_f64 v[26:27], v[20:21], s[18:19], -v[26:27]
	;; [unrolled: 1-line block ×4, first 2 shown]
	v_fma_f64 v[32:33], v[8:9], s[24:25], v[34:35]
	v_fma_f64 v[34:35], v[8:9], s[24:25], v[36:37]
	;; [unrolled: 1-line block ×3, first 2 shown]
	v_add_f64 v[12:13], v[12:13], v[16:17]
	v_add_f64 v[24:25], v[24:25], v[16:17]
	;; [unrolled: 1-line block ×3, first 2 shown]
	v_fma_f64 v[28:29], v[10:11], s[24:25], v[28:29]
	v_add_f64 v[4:5], v[4:5], v[14:15]
	v_fma_f64 v[36:37], v[10:11], s[24:25], v[6:7]
	v_add_f64 v[38:39], v[26:27], v[14:15]
	;; [unrolled: 2-line block ×3, first 2 shown]
	v_add_f64 v[26:27], v[12:13], -v[32:33]
	v_add_f64 v[10:11], v[34:35], v[24:25]
	v_add_f64 v[22:23], v[24:25], -v[34:35]
	v_add_f64 v[14:15], v[16:17], -v[8:9]
	v_add_f64 v[24:25], v[28:29], v[4:5]
	v_add_f64 v[18:19], v[8:9], v[16:17]
	;; [unrolled: 1-line block ×4, first 2 shown]
	v_add_f64 v[16:17], v[40:41], -v[30:31]
	v_add_f64 v[12:13], v[30:31], v[40:41]
	v_add_f64 v[8:9], v[38:39], -v[36:37]
	v_add_f64 v[4:5], v[4:5], -v[28:29]
	v_lshl_add_u32 v28, v64, 4, 0
	ds_write_b128 v28, v[0:3] offset:17472
	ds_write_b128 v28, v[24:27] offset:18304
	;; [unrolled: 1-line block ×7, first 2 shown]
.LBB0_23:
	s_or_b32 exec_lo, exec_lo, s1
	v_add_co_u32 v44, s0, s8, v80
	v_add_co_ci_u32_e64 v45, s0, s9, v81, s0
	v_add_co_u32 v46, s0, s8, v82
	v_add_co_ci_u32_e64 v47, s0, s9, v83, s0
	;; [unrolled: 2-line block ×4, first 2 shown]
	s_waitcnt lgkmcnt(0)
	s_barrier
	buffer_gl0_inv
	s_clause 0x1
	global_load_dwordx4 v[0:3], v[0:1], off offset:1520
	global_load_dwordx4 v[4:7], v[4:5], off offset:1520
	ds_read_b128 v[8:11], v73 offset:11648
	ds_read_b128 v[12:15], v73 offset:14560
	;; [unrolled: 1-line block ×4, first 2 shown]
	ds_read_b128 v[24:27], v73
	ds_read_b128 v[28:31], v73 offset:2912
	s_waitcnt vmcnt(1) lgkmcnt(5)
	v_mul_f64 v[32:33], v[10:11], v[2:3]
	v_mul_f64 v[34:35], v[8:9], v[2:3]
	s_waitcnt vmcnt(0) lgkmcnt(4)
	v_mul_f64 v[36:37], v[14:15], v[6:7]
	v_mul_f64 v[38:39], v[12:13], v[6:7]
	s_waitcnt lgkmcnt(3)
	v_mul_f64 v[40:41], v[18:19], v[2:3]
	v_mul_f64 v[2:3], v[16:17], v[2:3]
	s_waitcnt lgkmcnt(2)
	v_mul_f64 v[42:43], v[22:23], v[6:7]
	v_mul_f64 v[6:7], v[20:21], v[6:7]
	v_fma_f64 v[8:9], v[8:9], v[0:1], v[32:33]
	v_fma_f64 v[10:11], v[10:11], v[0:1], -v[34:35]
	v_fma_f64 v[12:13], v[12:13], v[4:5], v[36:37]
	v_fma_f64 v[14:15], v[14:15], v[4:5], -v[38:39]
	;; [unrolled: 2-line block ×4, first 2 shown]
	ds_read_b128 v[0:3], v73 offset:5824
	ds_read_b128 v[4:7], v73 offset:8736
	v_add_co_u32 v36, s0, s8, v76
	v_add_co_ci_u32_e64 v37, s0, s9, v77, s0
	v_add_co_u32 v38, s0, s8, v78
	v_add_co_ci_u32_e64 v39, s0, s9, v79, s0
	;; [unrolled: 2-line block ×3, first 2 shown]
	s_waitcnt lgkmcnt(3)
	v_add_f64 v[8:9], v[24:25], -v[8:9]
	v_add_f64 v[10:11], v[26:27], -v[10:11]
	s_waitcnt lgkmcnt(2)
	v_add_f64 v[12:13], v[28:29], -v[12:13]
	v_add_f64 v[14:15], v[30:31], -v[14:15]
	v_add_co_u32 v34, s0, 0x2800, v46
	s_waitcnt lgkmcnt(1)
	v_add_f64 v[16:17], v[0:1], -v[16:17]
	v_add_f64 v[18:19], v[2:3], -v[18:19]
	s_waitcnt lgkmcnt(0)
	v_add_f64 v[20:21], v[4:5], -v[20:21]
	v_add_f64 v[22:23], v[6:7], -v[22:23]
	v_add_co_ci_u32_e64 v35, s0, 0, v47, s0
	v_add_co_u32 v36, s0, 0x2800, v36
	v_add_co_ci_u32_e64 v37, s0, 0, v37, s0
	s_barrier
	buffer_gl0_inv
	v_fma_f64 v[24:25], v[24:25], 2.0, -v[8:9]
	v_fma_f64 v[26:27], v[26:27], 2.0, -v[10:11]
	;; [unrolled: 1-line block ×8, first 2 shown]
	ds_write_b128 v73, v[8:11] offset:5824
	ds_write_b128 v73, v[12:15] offset:8736
	;; [unrolled: 1-line block ×4, first 2 shown]
	ds_write_b128 v73, v[24:27]
	ds_write_b128 v73, v[28:31] offset:2912
	ds_write_b128 v73, v[0:3] offset:11648
	;; [unrolled: 1-line block ×3, first 2 shown]
	v_add_co_u32 v12, s0, 0x2800, v38
	s_waitcnt lgkmcnt(0)
	s_barrier
	buffer_gl0_inv
	global_load_dwordx4 v[0:3], v[32:33], off offset:1200
	v_add_co_ci_u32_e64 v13, s0, 0, v39, s0
	s_clause 0x2
	global_load_dwordx4 v[4:7], v[34:35], off offset:1200
	global_load_dwordx4 v[8:11], v[36:37], off offset:1200
	;; [unrolled: 1-line block ×3, first 2 shown]
	ds_read_b128 v[16:19], v73 offset:11648
	ds_read_b128 v[20:23], v73 offset:14560
	;; [unrolled: 1-line block ×4, first 2 shown]
	ds_read_b128 v[32:35], v73
	ds_read_b128 v[36:39], v73 offset:2912
	s_waitcnt vmcnt(3) lgkmcnt(5)
	v_mul_f64 v[40:41], v[18:19], v[2:3]
	v_mul_f64 v[2:3], v[16:17], v[2:3]
	s_waitcnt vmcnt(2) lgkmcnt(4)
	v_mul_f64 v[42:43], v[22:23], v[6:7]
	v_mul_f64 v[6:7], v[20:21], v[6:7]
	;; [unrolled: 3-line block ×4, first 2 shown]
	v_fma_f64 v[16:17], v[16:17], v[0:1], v[40:41]
	v_fma_f64 v[18:19], v[18:19], v[0:1], -v[2:3]
	v_fma_f64 v[20:21], v[20:21], v[4:5], v[42:43]
	v_fma_f64 v[22:23], v[22:23], v[4:5], -v[6:7]
	;; [unrolled: 2-line block ×4, first 2 shown]
	ds_read_b128 v[0:3], v73 offset:5824
	ds_read_b128 v[4:7], v73 offset:8736
	s_waitcnt lgkmcnt(0)
	s_barrier
	buffer_gl0_inv
	v_add_f64 v[8:9], v[32:33], -v[16:17]
	v_add_f64 v[10:11], v[34:35], -v[18:19]
	v_add_f64 v[12:13], v[36:37], -v[20:21]
	v_add_f64 v[14:15], v[38:39], -v[22:23]
	v_add_f64 v[16:17], v[0:1], -v[24:25]
	v_add_f64 v[18:19], v[2:3], -v[26:27]
	v_add_f64 v[20:21], v[4:5], -v[28:29]
	v_add_f64 v[22:23], v[6:7], -v[30:31]
	v_fma_f64 v[24:25], v[32:33], 2.0, -v[8:9]
	v_fma_f64 v[26:27], v[34:35], 2.0, -v[10:11]
	;; [unrolled: 1-line block ×8, first 2 shown]
	ds_write_b128 v73, v[8:11] offset:11648
	ds_write_b128 v73, v[12:15] offset:14560
	;; [unrolled: 1-line block ×4, first 2 shown]
	ds_write_b128 v73, v[24:27]
	ds_write_b128 v73, v[28:31] offset:2912
	ds_write_b128 v73, v[0:3] offset:5824
	;; [unrolled: 1-line block ×3, first 2 shown]
	s_waitcnt lgkmcnt(0)
	s_barrier
	buffer_gl0_inv
	s_and_saveexec_b32 s0, vcc_lo
	s_cbranch_execz .LBB0_25
; %bb.24:
	v_lshl_add_u32 v28, v72, 4, 0
	v_mov_b32_e32 v73, 0
	v_add_co_u32 v30, vcc_lo, s2, v74
	v_add_co_ci_u32_e32 v31, vcc_lo, s3, v75, vcc_lo
	ds_read_b128 v[0:3], v28
	v_lshlrev_b64 v[17:18], 4, v[72:73]
	ds_read_b128 v[4:7], v28 offset:2912
	ds_read_b128 v[8:11], v28 offset:5824
	v_add_nc_u32_e32 v12, 0xb6, v72
	v_mov_b32_e32 v13, v73
	v_add_nc_u32_e32 v14, 0x16c, v72
	v_mov_b32_e32 v15, v73
	v_add_co_u32 v17, vcc_lo, v30, v17
	v_lshlrev_b64 v[12:13], 4, v[12:13]
	v_add_co_ci_u32_e32 v18, vcc_lo, v31, v18, vcc_lo
	v_add_nc_u32_e32 v16, 0x222, v72
	v_lshlrev_b64 v[14:15], 4, v[14:15]
	v_mov_b32_e32 v19, v73
	v_add_co_u32 v12, vcc_lo, v30, v12
	v_add_co_ci_u32_e32 v13, vcc_lo, v31, v13, vcc_lo
	v_add_co_u32 v14, vcc_lo, v30, v14
	s_waitcnt lgkmcnt(2)
	global_store_dwordx4 v[17:18], v[0:3], off
	v_mov_b32_e32 v17, v73
	v_add_nc_u32_e32 v18, 0x2d8, v72
	s_waitcnt lgkmcnt(1)
	global_store_dwordx4 v[12:13], v[4:7], off
	v_add_co_ci_u32_e32 v15, vcc_lo, v31, v15, vcc_lo
	v_lshlrev_b64 v[16:17], 4, v[16:17]
	v_lshlrev_b64 v[4:5], 4, v[18:19]
	v_add_nc_u32_e32 v12, 0x38e, v72
	v_mov_b32_e32 v13, v73
	s_waitcnt lgkmcnt(0)
	global_store_dwordx4 v[14:15], v[8:11], off
	ds_read_b128 v[0:3], v28 offset:8736
	v_add_co_u32 v20, vcc_lo, v30, v16
	v_add_co_ci_u32_e32 v21, vcc_lo, v31, v17, vcc_lo
	v_add_co_u32 v22, vcc_lo, v30, v4
	v_add_co_ci_u32_e32 v23, vcc_lo, v31, v5, vcc_lo
	ds_read_b128 v[4:7], v28 offset:11648
	ds_read_b128 v[8:11], v28 offset:14560
	v_lshlrev_b64 v[26:27], 4, v[12:13]
	ds_read_b128 v[12:15], v28 offset:17472
	ds_read_b128 v[16:19], v28 offset:20384
	v_add_nc_u32_e32 v24, 0x444, v72
	v_mov_b32_e32 v25, v73
	v_add_nc_u32_e32 v72, 0x4fa, v72
	v_add_co_u32 v26, vcc_lo, v30, v26
	v_lshlrev_b64 v[24:25], 4, v[24:25]
	v_lshlrev_b64 v[28:29], 4, v[72:73]
	v_add_co_ci_u32_e32 v27, vcc_lo, v31, v27, vcc_lo
	v_add_co_u32 v24, vcc_lo, v30, v24
	v_add_co_ci_u32_e32 v25, vcc_lo, v31, v25, vcc_lo
	v_add_co_u32 v28, vcc_lo, v30, v28
	v_add_co_ci_u32_e32 v29, vcc_lo, v31, v29, vcc_lo
	s_waitcnt lgkmcnt(4)
	global_store_dwordx4 v[20:21], v[0:3], off
	s_waitcnt lgkmcnt(3)
	global_store_dwordx4 v[22:23], v[4:7], off
	;; [unrolled: 2-line block ×5, first 2 shown]
.LBB0_25:
	s_endpgm
	.section	.rodata,"a",@progbits
	.p2align	6, 0x0
	.amdhsa_kernel fft_rtc_back_len1456_factors_13_4_7_2_2_wgs_182_tpt_182_halfLds_dp_ip_CI_unitstride_sbrr_C2R_dirReg
		.amdhsa_group_segment_fixed_size 0
		.amdhsa_private_segment_fixed_size 0
		.amdhsa_kernarg_size 88
		.amdhsa_user_sgpr_count 6
		.amdhsa_user_sgpr_private_segment_buffer 1
		.amdhsa_user_sgpr_dispatch_ptr 0
		.amdhsa_user_sgpr_queue_ptr 0
		.amdhsa_user_sgpr_kernarg_segment_ptr 1
		.amdhsa_user_sgpr_dispatch_id 0
		.amdhsa_user_sgpr_flat_scratch_init 0
		.amdhsa_user_sgpr_private_segment_size 0
		.amdhsa_wavefront_size32 1
		.amdhsa_uses_dynamic_stack 0
		.amdhsa_system_sgpr_private_segment_wavefront_offset 0
		.amdhsa_system_sgpr_workgroup_id_x 1
		.amdhsa_system_sgpr_workgroup_id_y 0
		.amdhsa_system_sgpr_workgroup_id_z 0
		.amdhsa_system_sgpr_workgroup_info 0
		.amdhsa_system_vgpr_workitem_id 0
		.amdhsa_next_free_vgpr 255
		.amdhsa_next_free_sgpr 44
		.amdhsa_reserve_vcc 1
		.amdhsa_reserve_flat_scratch 0
		.amdhsa_float_round_mode_32 0
		.amdhsa_float_round_mode_16_64 0
		.amdhsa_float_denorm_mode_32 3
		.amdhsa_float_denorm_mode_16_64 3
		.amdhsa_dx10_clamp 1
		.amdhsa_ieee_mode 1
		.amdhsa_fp16_overflow 0
		.amdhsa_workgroup_processor_mode 1
		.amdhsa_memory_ordered 1
		.amdhsa_forward_progress 0
		.amdhsa_shared_vgpr_count 0
		.amdhsa_exception_fp_ieee_invalid_op 0
		.amdhsa_exception_fp_denorm_src 0
		.amdhsa_exception_fp_ieee_div_zero 0
		.amdhsa_exception_fp_ieee_overflow 0
		.amdhsa_exception_fp_ieee_underflow 0
		.amdhsa_exception_fp_ieee_inexact 0
		.amdhsa_exception_int_div_zero 0
	.end_amdhsa_kernel
	.text
.Lfunc_end0:
	.size	fft_rtc_back_len1456_factors_13_4_7_2_2_wgs_182_tpt_182_halfLds_dp_ip_CI_unitstride_sbrr_C2R_dirReg, .Lfunc_end0-fft_rtc_back_len1456_factors_13_4_7_2_2_wgs_182_tpt_182_halfLds_dp_ip_CI_unitstride_sbrr_C2R_dirReg
                                        ; -- End function
	.section	.AMDGPU.csdata,"",@progbits
; Kernel info:
; codeLenInByte = 11524
; NumSgprs: 46
; NumVgprs: 255
; ScratchSize: 0
; MemoryBound: 0
; FloatMode: 240
; IeeeMode: 1
; LDSByteSize: 0 bytes/workgroup (compile time only)
; SGPRBlocks: 5
; VGPRBlocks: 31
; NumSGPRsForWavesPerEU: 46
; NumVGPRsForWavesPerEU: 255
; Occupancy: 4
; WaveLimiterHint : 1
; COMPUTE_PGM_RSRC2:SCRATCH_EN: 0
; COMPUTE_PGM_RSRC2:USER_SGPR: 6
; COMPUTE_PGM_RSRC2:TRAP_HANDLER: 0
; COMPUTE_PGM_RSRC2:TGID_X_EN: 1
; COMPUTE_PGM_RSRC2:TGID_Y_EN: 0
; COMPUTE_PGM_RSRC2:TGID_Z_EN: 0
; COMPUTE_PGM_RSRC2:TIDIG_COMP_CNT: 0
	.text
	.p2alignl 6, 3214868480
	.fill 48, 4, 3214868480
	.type	__hip_cuid_f488a98b7ffc80bf,@object ; @__hip_cuid_f488a98b7ffc80bf
	.section	.bss,"aw",@nobits
	.globl	__hip_cuid_f488a98b7ffc80bf
__hip_cuid_f488a98b7ffc80bf:
	.byte	0                               ; 0x0
	.size	__hip_cuid_f488a98b7ffc80bf, 1

	.ident	"AMD clang version 19.0.0git (https://github.com/RadeonOpenCompute/llvm-project roc-6.4.0 25133 c7fe45cf4b819c5991fe208aaa96edf142730f1d)"
	.section	".note.GNU-stack","",@progbits
	.addrsig
	.addrsig_sym __hip_cuid_f488a98b7ffc80bf
	.amdgpu_metadata
---
amdhsa.kernels:
  - .args:
      - .actual_access:  read_only
        .address_space:  global
        .offset:         0
        .size:           8
        .value_kind:     global_buffer
      - .offset:         8
        .size:           8
        .value_kind:     by_value
      - .actual_access:  read_only
        .address_space:  global
        .offset:         16
        .size:           8
        .value_kind:     global_buffer
      - .actual_access:  read_only
        .address_space:  global
        .offset:         24
        .size:           8
        .value_kind:     global_buffer
      - .offset:         32
        .size:           8
        .value_kind:     by_value
      - .actual_access:  read_only
        .address_space:  global
        .offset:         40
        .size:           8
        .value_kind:     global_buffer
      - .actual_access:  read_only
        .address_space:  global
        .offset:         48
        .size:           8
        .value_kind:     global_buffer
      - .offset:         56
        .size:           4
        .value_kind:     by_value
      - .actual_access:  read_only
        .address_space:  global
        .offset:         64
        .size:           8
        .value_kind:     global_buffer
      - .actual_access:  read_only
        .address_space:  global
        .offset:         72
        .size:           8
        .value_kind:     global_buffer
      - .address_space:  global
        .offset:         80
        .size:           8
        .value_kind:     global_buffer
    .group_segment_fixed_size: 0
    .kernarg_segment_align: 8
    .kernarg_segment_size: 88
    .language:       OpenCL C
    .language_version:
      - 2
      - 0
    .max_flat_workgroup_size: 182
    .name:           fft_rtc_back_len1456_factors_13_4_7_2_2_wgs_182_tpt_182_halfLds_dp_ip_CI_unitstride_sbrr_C2R_dirReg
    .private_segment_fixed_size: 0
    .sgpr_count:     46
    .sgpr_spill_count: 0
    .symbol:         fft_rtc_back_len1456_factors_13_4_7_2_2_wgs_182_tpt_182_halfLds_dp_ip_CI_unitstride_sbrr_C2R_dirReg.kd
    .uniform_work_group_size: 1
    .uses_dynamic_stack: false
    .vgpr_count:     255
    .vgpr_spill_count: 0
    .wavefront_size: 32
    .workgroup_processor_mode: 1
amdhsa.target:   amdgcn-amd-amdhsa--gfx1030
amdhsa.version:
  - 1
  - 2
...

	.end_amdgpu_metadata
